;; amdgpu-corpus repo=ROCm/rocFFT kind=compiled arch=gfx906 opt=O3
	.text
	.amdgcn_target "amdgcn-amd-amdhsa--gfx906"
	.amdhsa_code_object_version 6
	.protected	fft_rtc_back_len935_factors_17_11_5_wgs_255_tpt_85_halfLds_half_ip_CI_unitstride_sbrr_dirReg ; -- Begin function fft_rtc_back_len935_factors_17_11_5_wgs_255_tpt_85_halfLds_half_ip_CI_unitstride_sbrr_dirReg
	.globl	fft_rtc_back_len935_factors_17_11_5_wgs_255_tpt_85_halfLds_half_ip_CI_unitstride_sbrr_dirReg
	.p2align	8
	.type	fft_rtc_back_len935_factors_17_11_5_wgs_255_tpt_85_halfLds_half_ip_CI_unitstride_sbrr_dirReg,@function
fft_rtc_back_len935_factors_17_11_5_wgs_255_tpt_85_halfLds_half_ip_CI_unitstride_sbrr_dirReg: ; @fft_rtc_back_len935_factors_17_11_5_wgs_255_tpt_85_halfLds_half_ip_CI_unitstride_sbrr_dirReg
; %bb.0:
	s_load_dwordx2 s[12:13], s[4:5], 0x50
	s_load_dwordx4 s[8:11], s[4:5], 0x0
	s_load_dwordx2 s[2:3], s[4:5], 0x18
	v_mul_u32_u24_e32 v1, 0x304, v0
	v_lshrrev_b32_e32 v1, 16, v1
	v_mad_u64_u32 v[1:2], s[0:1], s6, 3, v[1:2]
	v_mov_b32_e32 v5, 0
	s_waitcnt lgkmcnt(0)
	v_cmp_lt_u64_e64 s[0:1], s[10:11], 2
	v_mov_b32_e32 v2, v5
	v_mov_b32_e32 v3, 0
	;; [unrolled: 1-line block ×3, first 2 shown]
	s_and_b64 vcc, exec, s[0:1]
	v_mov_b32_e32 v4, 0
	v_mov_b32_e32 v9, v1
	s_cbranch_vccnz .LBB0_8
; %bb.1:
	s_load_dwordx2 s[0:1], s[4:5], 0x10
	s_add_u32 s6, s2, 8
	s_addc_u32 s7, s3, 0
	v_mov_b32_e32 v3, 0
	v_mov_b32_e32 v8, v2
	s_waitcnt lgkmcnt(0)
	s_add_u32 s16, s0, 8
	s_mov_b64 s[14:15], 1
	v_mov_b32_e32 v4, 0
	s_addc_u32 s17, s1, 0
	v_mov_b32_e32 v7, v1
.LBB0_2:                                ; =>This Inner Loop Header: Depth=1
	s_load_dwordx2 s[18:19], s[16:17], 0x0
                                        ; implicit-def: $vgpr9_vgpr10
	s_waitcnt lgkmcnt(0)
	v_or_b32_e32 v6, s19, v8
	v_cmp_ne_u64_e32 vcc, 0, v[5:6]
	s_and_saveexec_b64 s[0:1], vcc
	s_xor_b64 s[20:21], exec, s[0:1]
	s_cbranch_execz .LBB0_4
; %bb.3:                                ;   in Loop: Header=BB0_2 Depth=1
	v_cvt_f32_u32_e32 v2, s18
	v_cvt_f32_u32_e32 v6, s19
	s_sub_u32 s0, 0, s18
	s_subb_u32 s1, 0, s19
	v_mac_f32_e32 v2, 0x4f800000, v6
	v_rcp_f32_e32 v2, v2
	v_mul_f32_e32 v2, 0x5f7ffffc, v2
	v_mul_f32_e32 v6, 0x2f800000, v2
	v_trunc_f32_e32 v6, v6
	v_mac_f32_e32 v2, 0xcf800000, v6
	v_cvt_u32_f32_e32 v6, v6
	v_cvt_u32_f32_e32 v2, v2
	v_mul_lo_u32 v9, s0, v6
	v_mul_hi_u32 v10, s0, v2
	v_mul_lo_u32 v12, s1, v2
	v_mul_lo_u32 v11, s0, v2
	v_add_u32_e32 v9, v10, v9
	v_add_u32_e32 v9, v9, v12
	v_mul_hi_u32 v10, v2, v11
	v_mul_lo_u32 v12, v2, v9
	v_mul_hi_u32 v14, v2, v9
	v_mul_hi_u32 v13, v6, v11
	v_mul_lo_u32 v11, v6, v11
	v_mul_hi_u32 v15, v6, v9
	v_add_co_u32_e32 v10, vcc, v10, v12
	v_addc_co_u32_e32 v12, vcc, 0, v14, vcc
	v_mul_lo_u32 v9, v6, v9
	v_add_co_u32_e32 v10, vcc, v10, v11
	v_addc_co_u32_e32 v10, vcc, v12, v13, vcc
	v_addc_co_u32_e32 v11, vcc, 0, v15, vcc
	v_add_co_u32_e32 v9, vcc, v10, v9
	v_addc_co_u32_e32 v10, vcc, 0, v11, vcc
	v_add_co_u32_e32 v2, vcc, v2, v9
	v_addc_co_u32_e32 v6, vcc, v6, v10, vcc
	v_mul_lo_u32 v9, s0, v6
	v_mul_hi_u32 v10, s0, v2
	v_mul_lo_u32 v11, s1, v2
	v_mul_lo_u32 v12, s0, v2
	v_add_u32_e32 v9, v10, v9
	v_add_u32_e32 v9, v9, v11
	v_mul_lo_u32 v13, v2, v9
	v_mul_hi_u32 v14, v2, v12
	v_mul_hi_u32 v15, v2, v9
	;; [unrolled: 1-line block ×3, first 2 shown]
	v_mul_lo_u32 v12, v6, v12
	v_mul_hi_u32 v10, v6, v9
	v_add_co_u32_e32 v13, vcc, v14, v13
	v_addc_co_u32_e32 v14, vcc, 0, v15, vcc
	v_mul_lo_u32 v9, v6, v9
	v_add_co_u32_e32 v12, vcc, v13, v12
	v_addc_co_u32_e32 v11, vcc, v14, v11, vcc
	v_addc_co_u32_e32 v10, vcc, 0, v10, vcc
	v_add_co_u32_e32 v9, vcc, v11, v9
	v_addc_co_u32_e32 v10, vcc, 0, v10, vcc
	v_add_co_u32_e32 v2, vcc, v2, v9
	v_addc_co_u32_e32 v6, vcc, v6, v10, vcc
	v_mad_u64_u32 v[9:10], s[0:1], v7, v6, 0
	v_mul_hi_u32 v11, v7, v2
	v_add_co_u32_e32 v13, vcc, v11, v9
	v_addc_co_u32_e32 v14, vcc, 0, v10, vcc
	v_mad_u64_u32 v[9:10], s[0:1], v8, v2, 0
	v_mad_u64_u32 v[11:12], s[0:1], v8, v6, 0
	v_add_co_u32_e32 v2, vcc, v13, v9
	v_addc_co_u32_e32 v2, vcc, v14, v10, vcc
	v_addc_co_u32_e32 v6, vcc, 0, v12, vcc
	v_add_co_u32_e32 v2, vcc, v2, v11
	v_addc_co_u32_e32 v6, vcc, 0, v6, vcc
	v_mul_lo_u32 v11, s19, v2
	v_mul_lo_u32 v12, s18, v6
	v_mad_u64_u32 v[9:10], s[0:1], s18, v2, 0
	v_add3_u32 v10, v10, v12, v11
	v_sub_u32_e32 v11, v8, v10
	v_mov_b32_e32 v12, s19
	v_sub_co_u32_e32 v9, vcc, v7, v9
	v_subb_co_u32_e64 v11, s[0:1], v11, v12, vcc
	v_subrev_co_u32_e64 v12, s[0:1], s18, v9
	v_subbrev_co_u32_e64 v11, s[0:1], 0, v11, s[0:1]
	v_cmp_le_u32_e64 s[0:1], s19, v11
	v_cndmask_b32_e64 v13, 0, -1, s[0:1]
	v_cmp_le_u32_e64 s[0:1], s18, v12
	v_cndmask_b32_e64 v12, 0, -1, s[0:1]
	v_cmp_eq_u32_e64 s[0:1], s19, v11
	v_cndmask_b32_e64 v11, v13, v12, s[0:1]
	v_add_co_u32_e64 v12, s[0:1], 2, v2
	v_addc_co_u32_e64 v13, s[0:1], 0, v6, s[0:1]
	v_add_co_u32_e64 v14, s[0:1], 1, v2
	v_addc_co_u32_e64 v15, s[0:1], 0, v6, s[0:1]
	v_subb_co_u32_e32 v10, vcc, v8, v10, vcc
	v_cmp_ne_u32_e64 s[0:1], 0, v11
	v_cmp_le_u32_e32 vcc, s19, v10
	v_cndmask_b32_e64 v11, v15, v13, s[0:1]
	v_cndmask_b32_e64 v13, 0, -1, vcc
	v_cmp_le_u32_e32 vcc, s18, v9
	v_cndmask_b32_e64 v9, 0, -1, vcc
	v_cmp_eq_u32_e32 vcc, s19, v10
	v_cndmask_b32_e32 v9, v13, v9, vcc
	v_cmp_ne_u32_e32 vcc, 0, v9
	v_cndmask_b32_e32 v10, v6, v11, vcc
	v_cndmask_b32_e64 v6, v14, v12, s[0:1]
	v_cndmask_b32_e32 v9, v2, v6, vcc
.LBB0_4:                                ;   in Loop: Header=BB0_2 Depth=1
	s_andn2_saveexec_b64 s[0:1], s[20:21]
	s_cbranch_execz .LBB0_6
; %bb.5:                                ;   in Loop: Header=BB0_2 Depth=1
	v_cvt_f32_u32_e32 v2, s18
	s_sub_i32 s20, 0, s18
	v_rcp_iflag_f32_e32 v2, v2
	v_mul_f32_e32 v2, 0x4f7ffffe, v2
	v_cvt_u32_f32_e32 v2, v2
	v_mul_lo_u32 v6, s20, v2
	v_mul_hi_u32 v6, v2, v6
	v_add_u32_e32 v2, v2, v6
	v_mul_hi_u32 v2, v7, v2
	v_mul_lo_u32 v6, v2, s18
	v_add_u32_e32 v9, 1, v2
	v_sub_u32_e32 v6, v7, v6
	v_subrev_u32_e32 v10, s18, v6
	v_cmp_le_u32_e32 vcc, s18, v6
	v_cndmask_b32_e32 v6, v6, v10, vcc
	v_cndmask_b32_e32 v2, v2, v9, vcc
	v_add_u32_e32 v9, 1, v2
	v_cmp_le_u32_e32 vcc, s18, v6
	v_cndmask_b32_e32 v9, v2, v9, vcc
	v_mov_b32_e32 v10, v5
.LBB0_6:                                ;   in Loop: Header=BB0_2 Depth=1
	s_or_b64 exec, exec, s[0:1]
	v_mul_lo_u32 v2, v10, s18
	v_mul_lo_u32 v6, v9, s19
	v_mad_u64_u32 v[11:12], s[0:1], v9, s18, 0
	s_load_dwordx2 s[0:1], s[6:7], 0x0
	s_add_u32 s14, s14, 1
	v_add3_u32 v2, v12, v6, v2
	v_sub_co_u32_e32 v6, vcc, v7, v11
	v_subb_co_u32_e32 v2, vcc, v8, v2, vcc
	s_waitcnt lgkmcnt(0)
	v_mul_lo_u32 v2, s0, v2
	v_mul_lo_u32 v7, s1, v6
	v_mad_u64_u32 v[3:4], s[0:1], s0, v6, v[3:4]
	s_addc_u32 s15, s15, 0
	s_add_u32 s6, s6, 8
	v_add3_u32 v4, v7, v4, v2
	v_mov_b32_e32 v6, s10
	v_mov_b32_e32 v7, s11
	s_addc_u32 s7, s7, 0
	v_cmp_ge_u64_e32 vcc, s[14:15], v[6:7]
	s_add_u32 s16, s16, 8
	s_addc_u32 s17, s17, 0
	s_cbranch_vccnz .LBB0_8
; %bb.7:                                ;   in Loop: Header=BB0_2 Depth=1
	v_mov_b32_e32 v7, v9
	v_mov_b32_e32 v8, v10
	s_branch .LBB0_2
.LBB0_8:
	s_lshl_b64 s[0:1], s[10:11], 3
	s_add_u32 s0, s2, s0
	s_addc_u32 s1, s3, s1
	s_load_dwordx2 s[2:3], s[0:1], 0x0
	s_load_dwordx2 s[6:7], s[4:5], 0x20
                                        ; implicit-def: $vgpr12
                                        ; implicit-def: $vgpr13
                                        ; implicit-def: $vgpr14
                                        ; implicit-def: $vgpr11
                                        ; implicit-def: $vgpr15
                                        ; implicit-def: $vgpr28
                                        ; implicit-def: $vgpr16
                                        ; implicit-def: $vgpr29
                                        ; implicit-def: $vgpr17
                                        ; implicit-def: $vgpr30
                                        ; implicit-def: $vgpr18
                                        ; implicit-def: $vgpr31
                                        ; implicit-def: $vgpr19
                                        ; implicit-def: $vgpr32
                                        ; implicit-def: $vgpr20
                                        ; implicit-def: $vgpr40
                                        ; implicit-def: $vgpr21
                                        ; implicit-def: $vgpr39
                                        ; implicit-def: $vgpr22
                                        ; implicit-def: $vgpr38
                                        ; implicit-def: $vgpr23
                                        ; implicit-def: $vgpr37
                                        ; implicit-def: $vgpr24
                                        ; implicit-def: $vgpr36
                                        ; implicit-def: $vgpr25
                                        ; implicit-def: $vgpr35
                                        ; implicit-def: $vgpr26
                                        ; implicit-def: $vgpr34
                                        ; implicit-def: $vgpr27
                                        ; implicit-def: $vgpr33
	s_waitcnt lgkmcnt(0)
	v_mad_u64_u32 v[2:3], s[0:1], s2, v9, v[3:4]
	s_mov_b32 s0, 0x3030304
	v_mul_hi_u32 v4, v0, s0
	v_mul_lo_u32 v5, s2, v10
	v_mul_lo_u32 v6, s3, v9
	v_cmp_gt_u64_e32 vcc, s[6:7], v[9:10]
	v_mul_u32_u24_e32 v4, 0x55, v4
	v_sub_u32_e32 v7, v0, v4
	v_add3_u32 v3, v6, v3, v5
	v_cmp_gt_u32_e64 s[0:1], 55, v7
	v_lshlrev_b64 v[9:10], 2, v[2:3]
	s_and_b64 s[2:3], vcc, s[0:1]
	v_mov_b32_e32 v6, 0
	v_mov_b32_e32 v0, 0
                                        ; implicit-def: $vgpr4
                                        ; implicit-def: $vgpr5
	s_and_saveexec_b64 s[4:5], s[2:3]
	s_cbranch_execz .LBB0_10
; %bb.9:
	v_mov_b32_e32 v8, 0
	v_mov_b32_e32 v0, s13
	v_add_co_u32_e64 v4, s[2:3], s12, v9
	v_lshlrev_b64 v[2:3], 2, v[7:8]
	v_addc_co_u32_e64 v0, s[2:3], v0, v10, s[2:3]
	v_add_co_u32_e64 v2, s[2:3], v4, v2
	v_addc_co_u32_e64 v3, s[2:3], v0, v3, s[2:3]
	global_load_dword v0, v[2:3], off
	global_load_dword v4, v[2:3], off offset:220
	global_load_dword v5, v[2:3], off offset:440
	;; [unrolled: 1-line block ×16, first 2 shown]
	s_waitcnt vmcnt(16)
	v_lshrrev_b32_e32 v6, 16, v0
	s_waitcnt vmcnt(15)
	v_lshrrev_b32_e32 v12, 16, v4
	;; [unrolled: 2-line block ×17, first 2 shown]
.LBB0_10:
	s_or_b64 exec, exec, s[4:5]
	s_mov_b32 s2, 0xaaaaaaab
	v_mul_hi_u32 v2, v1, s2
	v_sub_f16_e32 v65, v12, v20
	s_mov_b32 s24, 0xbb29bbf7
	v_add_f16_e32 v3, v4, v40
	v_lshrrev_b32_e32 v2, 1, v2
	s_mov_b32 s4, 0x37222de8
	v_lshl_add_u32 v2, v2, 1, v2
	v_pk_mul_f16 v62, v65, s24 op_sel_hi:[0,1]
	s_mov_b32 s25, 0xba62b1e1
	v_sub_f16_e32 v66, v13, v21
	v_sub_u32_e32 v8, v1, v2
	v_pk_fma_f16 v1, v3, s4, v62 op_sel_hi:[0,1,1] neg_lo:[0,0,1] neg_hi:[0,0,1]
	s_mov_b32 s5, 0xb8d2bbdd
	v_add_f16_e32 v43, v5, v39
	v_pk_mul_f16 v55, v66, s25 op_sel_hi:[0,1]
	s_mov_b32 s26, 0x31e13bb2
	v_sub_f16_e32 v67, v14, v22
	v_pk_add_f16 v1, v0, v1 op_sel_hi:[0,1]
	v_pk_fma_f16 v2, v43, s5, v55 op_sel_hi:[0,1,1] neg_lo:[0,0,1] neg_hi:[0,0,1]
	s_mov_b32 s6, 0xbbddb461
	v_add_f16_e32 v45, v11, v38
	v_pk_mul_f16 v53, v67, s26 op_sel_hi:[0,1]
	s_mov_b32 s27, 0x3bb235c8
	v_sub_f16_e32 v68, v15, v23
	v_pk_add_f16 v1, v1, v2
	v_pk_fma_f16 v2, v45, s6, v53 op_sel_hi:[0,1,1] neg_lo:[0,0,1] neg_hi:[0,0,1]
	s_mov_b32 s7, 0xb4613b76
	v_add_f16_e32 v48, v28, v37
	v_pk_mul_f16 v56, v68, s27 op_sel_hi:[0,1]
	s_mov_b32 s28, 0x3964bb29
	v_sub_f16_e32 v69, v16, v24
	v_pk_add_f16 v1, v1, v2
	;; [unrolled: 7-line block ×4, first 2 shown]
	v_pk_fma_f16 v2, v57, s11, v41 op_sel_hi:[0,1,1] neg_lo:[0,0,1] neg_hi:[0,0,1]
	s_mov_b32 s14, 0x2de8b8d2
	v_add_f16_e32 v59, v31, v34
	v_pk_mul_f16 v42, v71, s31 op_sel_hi:[0,1]
	s_mov_b32 s33, 0xbbb2ba62
	v_pk_add_f16 v1, v1, v2
	v_pk_fma_f16 v2, v59, s14, v42 op_sel_hi:[0,1,1] neg_lo:[0,0,1] neg_hi:[0,0,1]
	s_mov_b32 s15, 0xb461b8d2
	v_pk_mul_f16 v44, v65, s33 op_sel_hi:[0,1]
	s_mov_b32 s34, 0x38363bb2
	v_pk_add_f16 v1, v1, v2
	v_pk_fma_f16 v2, v3, s15, v44 op_sel_hi:[0,1,1] neg_lo:[0,0,1] neg_hi:[0,0,1]
	s_mov_b32 s16, 0xbacdb461
	v_pk_mul_f16 v46, v66, s34 op_sel_hi:[0,1]
	v_pk_add_f16 v2, v0, v2 op_sel_hi:[0,1]
	v_pk_fma_f16 v47, v43, s16, v46 op_sel_hi:[0,1,1] neg_lo:[0,0,1] neg_hi:[0,0,1]
	s_mov_b32 s35, 0x3964b5c8
	v_pk_add_f16 v2, v2, v47
	s_mov_b32 s17, 0x39e93b76
	v_pk_mul_f16 v47, v67, s35 op_sel_hi:[0,1]
	v_pk_fma_f16 v49, v45, s17, v47 op_sel_hi:[0,1,1] neg_lo:[0,0,1] neg_hi:[0,0,1]
	s_mov_b32 s36, 0xbb29b836
	v_pk_add_f16 v2, v2, v49
	s_mov_b32 s18, 0x3722bacd
	v_pk_mul_f16 v49, v68, s36 op_sel_hi:[0,1]
	;; [unrolled: 5-line block ×5, first 2 shown]
	v_pk_fma_f16 v60, v59, s21, v54 op_sel_hi:[0,1,1] neg_lo:[0,0,1] neg_hi:[0,0,1]
	s_mov_b32 s41, 0xb8363964
	s_mov_b32 s40, 0xba623b29
	v_sub_f16_e32 v64, v19, v27
	v_pk_add_f16 v72, v2, v60
	s_mov_b32 s23, 0xbacd39e9
	s_mov_b32 s22, 0xb8d23722
	v_add_f16_e32 v63, v32, v33
	v_pk_mul_f16 v61, v64, s41 op_sel_hi:[0,1]
	v_pk_mul_f16 v60, v64, s40 op_sel_hi:[0,1]
	v_pk_fma_f16 v2, v63, s23, v61 op_sel_hi:[0,1,1] neg_lo:[0,0,1] neg_hi:[0,0,1]
	v_pk_fma_f16 v73, v63, s22, v60 op_sel_hi:[0,1,1] neg_lo:[0,0,1] neg_hi:[0,0,1]
	v_mul_u32_u24_e32 v8, 0x3a7, v8
	v_pk_add_f16 v2, v1, v2
	v_pk_add_f16 v1, v72, v73
	s_mov_b32 s30, 0x5040100
	v_lshlrev_b32_e32 v8, 1, v8
	s_and_saveexec_b64 s[2:3], s[0:1]
	s_cbranch_execz .LBB0_12
; %bb.11:
	v_perm_b32 v73, v0, v0, s30
	v_add_f16_e32 v0, v0, v4
	v_add_f16_e32 v0, v0, v5
	;; [unrolled: 1-line block ×14, first 2 shown]
	v_pack_b32_f16 v65, v65, v65
	s_mov_b32 s42, 0xb964b5c8
	v_add_f16_e32 v0, v39, v0
	v_mul_u32_u24_e32 v87, 34, v7
	v_pack_b32_f16 v72, v3, v3
	v_pack_b32_f16 v66, v66, v66
	v_pk_mul_f16 v80, v65, s42
	s_mov_b32 s42, 0xbbf7b964
	v_add_f16_e32 v0, v40, v0
	v_add3_u32 v87, 0, v87, v8
	v_pack_b32_f16 v74, v43, v43
	v_pack_b32_f16 v67, v67, v67
	v_pk_mul_f16 v81, v66, s42
	s_mov_b32 s42, 0xba62bb29
	ds_write_b16 v87, v0
	v_pk_fma_f16 v0, v72, s17, v80
	v_pack_b32_f16 v75, v45, v45
	v_pack_b32_f16 v68, v68, v68
	v_pk_mul_f16 v82, v67, s42
	s_mov_b32 s42, 0xb1e1bbf7
	v_pk_add_f16 v0, v73, v0
	v_pk_fma_f16 v88, v74, s20, v81
	v_pack_b32_f16 v76, v48, v48
	v_pack_b32_f16 v69, v69, v69
	v_pk_mul_f16 v83, v68, s42
	s_mov_b32 s42, 0x3836bbb2
	v_pk_add_f16 v0, v0, v88
	;; [unrolled: 6-line block ×4, first 2 shown]
	v_pk_fma_f16 v88, v77, s16, v84
	v_pack_b32_f16 v79, v59, v59
	v_pk_mul_f16 v86, v71, s42
	v_pk_add_f16 v0, v0, v88
	v_pk_fma_f16 v88, v78, s15, v85
	v_pk_add_f16 v0, v0, v88
	v_pk_fma_f16 v88, v79, s18, v86
	v_pk_add_f16 v0, v0, v88
	v_pk_mul_f16 v88, v3, s4 op_sel_hi:[0,1]
	v_pk_add_f16 v62, v62, v88
	v_pk_mul_f16 v88, v43, s5 op_sel_hi:[0,1]
	;; [unrolled: 2-line block ×3, first 2 shown]
	v_pk_add_f16 v62, v73, v62
	v_pk_add_f16 v55, v62, v55
	v_pk_mul_f16 v62, v48, s7 op_sel_hi:[0,1]
	v_pk_add_f16 v53, v53, v88
	v_pk_mul_f16 v88, v51, s10 op_sel_hi:[0,1]
	v_pk_add_f16 v53, v55, v53
	v_pk_add_f16 v56, v56, v62
	;; [unrolled: 1-line block ×4, first 2 shown]
	v_pack_b32_f16 v64, v64, v64
	s_mov_b32 s50, 0x3bf7bbb2
	v_pk_mul_f16 v55, v57, s11 op_sel_hi:[0,1]
	v_pk_add_f16 v53, v53, v58
	v_pk_mul_f16 v58, v64, s50
	s_mov_b32 s50, 0x35c8b1e1
	v_pk_mul_f16 v62, v59, s14 op_sel_hi:[0,1]
	v_pack_b32_f16 v56, v63, v63
	v_pk_mul_f16 v64, v64, s50
	v_pk_add_f16 v41, v41, v55
	v_pk_mul_f16 v88, v63, s23 op_sel_hi:[0,1]
	v_pk_fma_f16 v55, v56, s21, v64
	v_pk_add_f16 v53, v53, v41
	v_pk_add_f16 v42, v42, v62
	;; [unrolled: 1-line block ×5, first 2 shown]
	v_pk_mul_f16 v3, v3, s15 op_sel_hi:[0,1]
	v_pk_add_f16 v0, v0, v42
	v_pk_mul_f16 v43, v43, s16 op_sel_hi:[0,1]
	v_alignbit_b32 v42, v0, v0, 16
	v_pk_add_f16 v0, v44, v3
	v_pk_mul_f16 v45, v45, s17 op_sel_hi:[0,1]
	v_pk_add_f16 v0, v73, v0
	v_pk_add_f16 v3, v46, v43
	v_pk_mul_f16 v48, v48, s18 op_sel_hi:[0,1]
	v_pk_add_f16 v0, v0, v3
	;; [unrolled: 3-line block ×6, first 2 shown]
	v_pk_add_f16 v3, v54, v59
	s_mov_b32 s43, 0xb1e1b836
	v_pk_add_f16 v0, v0, v3
	v_pk_add_f16 v3, v60, v63
	s_mov_b32 s42, 0xbbddbacd
	v_pk_mul_f16 v65, v65, s43
	s_mov_b32 s44, 0x35c83b29
	v_pk_add_f16 v0, v0, v3
	s_mov_b32 s43, 0x3b763722
	v_pk_mul_f16 v66, v66, s44
	s_mov_b32 s45, 0xb836bbf7
	v_alignbit_b32 v43, v0, v0, 16
	v_pk_fma_f16 v0, v72, s42, v65
	s_mov_b32 s44, 0xbacd2de8
	v_pk_mul_f16 v67, v67, s45
	s_mov_b32 s46, 0x39643a62
	v_pk_add_f16 v0, v73, v0
	v_pk_fma_f16 v3, v74, s43, v66
	s_mov_b32 s45, 0x39e9b8d2
	v_pk_mul_f16 v68, v68, s46
	s_mov_b32 s47, 0xba62b5c8
	v_pk_add_f16 v0, v0, v3
	;; [unrolled: 5-line block ×4, first 2 shown]
	v_pk_fma_f16 v3, v77, s46, v69
	s_mov_b32 s48, 0xb46139e9
	v_pk_mul_f16 v71, v71, s49
	v_pk_add_f16 v0, v0, v3
	v_pk_fma_f16 v3, v78, s47, v70
	s_mov_b32 s49, 0x2de8b461
	v_pk_add_f16 v0, v0, v3
	v_pk_fma_f16 v3, v79, s48, v71
	v_pk_add_f16 v0, v0, v3
	v_pk_fma_f16 v3, v56, s49, v58
	v_pk_add_f16 v44, v0, v3
	v_pk_fma_f16 v0, v72, s42, v65 neg_lo:[0,0,1] neg_hi:[0,0,1]
	v_pk_add_f16 v0, v73, v0
	v_pk_fma_f16 v3, v74, s43, v66 neg_lo:[0,0,1] neg_hi:[0,0,1]
	;; [unrolled: 2-line block ×9, first 2 shown]
	ds_write_b128 v87, v[41:44] offset:2
	v_pk_add_f16 v3, v73, v3
	v_pk_fma_f16 v41, v74, s20, v81 neg_lo:[0,0,1] neg_hi:[0,0,1]
	v_pk_add_f16 v3, v3, v41
	v_pk_fma_f16 v41, v75, s22, v82 neg_lo:[0,0,1] neg_hi:[0,0,1]
	;; [unrolled: 2-line block ×7, first 2 shown]
	v_pk_add_f16 v3, v3, v41
	v_alignbit_b32 v0, v0, v0, 16
	v_alignbit_b32 v3, v3, v3, 16
	ds_write_b128 v87, v[0:3] offset:18
.LBB0_12:
	s_or_b64 exec, exec, s[2:3]
	v_sub_f16_e32 v70, v4, v40
	v_add_f16_e32 v55, v12, v20
	v_sub_f16_e32 v63, v5, v39
	v_pk_mul_f16 v39, v70, s24 op_sel_hi:[0,1]
	v_add_f16_e32 v56, v13, v21
	v_sub_f16_e32 v64, v11, v38
	v_pk_fma_f16 v0, v55, s4, v39 op_sel_hi:[0,1,1]
	v_pk_mul_f16 v40, v63, s25 op_sel_hi:[0,1]
	v_add_f16_e32 v57, v14, v22
	v_sub_f16_e32 v65, v28, v37
	v_pk_add_f16 v0, v6, v0 op_sel_hi:[0,1]
	v_pk_fma_f16 v3, v56, s5, v40 op_sel_hi:[0,1,1]
	v_pk_mul_f16 v41, v64, s26 op_sel_hi:[0,1]
	v_add_f16_e32 v58, v15, v23
	v_sub_f16_e32 v66, v29, v36
	v_pk_add_f16 v0, v0, v3
	v_pk_fma_f16 v3, v57, s6, v41 op_sel_hi:[0,1,1]
	v_pk_mul_f16 v42, v65, s27 op_sel_hi:[0,1]
	v_add_f16_e32 v59, v16, v24
	v_sub_f16_e32 v67, v30, v35
	v_pk_add_f16 v0, v0, v3
	v_pk_fma_f16 v3, v58, s7, v42 op_sel_hi:[0,1,1]
	v_pk_mul_f16 v43, v66, s28 op_sel_hi:[0,1]
	v_add_f16_e32 v60, v17, v25
	v_sub_f16_e32 v68, v31, v34
	v_pk_add_f16 v0, v0, v3
	v_pk_fma_f16 v3, v59, s10, v43 op_sel_hi:[0,1,1]
	v_pk_mul_f16 v44, v67, s29 op_sel_hi:[0,1]
	v_add_f16_e32 v61, v18, v26
	v_sub_f16_e32 v69, v32, v33
	v_pk_add_f16 v0, v0, v3
	v_pk_fma_f16 v3, v60, s11, v44 op_sel_hi:[0,1,1]
	v_pk_mul_f16 v45, v68, s31 op_sel_hi:[0,1]
	v_add_f16_e32 v62, v19, v27
	v_pk_add_f16 v0, v0, v3
	v_pk_fma_f16 v3, v61, s14, v45 op_sel_hi:[0,1,1]
	v_pk_mul_f16 v46, v69, s41 op_sel_hi:[0,1]
	v_pk_add_f16 v0, v0, v3
	v_pk_fma_f16 v3, v62, s23, v46 op_sel_hi:[0,1,1]
	v_pk_mul_f16 v47, v70, s33 op_sel_hi:[0,1]
	;; [unrolled: 3-line block ×3, first 2 shown]
	v_pk_add_f16 v0, v6, v0 op_sel_hi:[0,1]
	v_pk_fma_f16 v3, v56, s16, v48 op_sel_hi:[0,1,1]
	v_pk_mul_f16 v49, v64, s35 op_sel_hi:[0,1]
	v_pk_add_f16 v0, v0, v3
	v_pk_fma_f16 v3, v57, s17, v49 op_sel_hi:[0,1,1]
	v_pk_mul_f16 v50, v65, s36 op_sel_hi:[0,1]
	v_pk_add_f16 v0, v0, v3
	;; [unrolled: 3-line block ×5, first 2 shown]
	v_pk_fma_f16 v3, v61, s21, v53 op_sel_hi:[0,1,1]
	v_pk_add_f16 v4, v0, v3
	v_lshlrev_b32_e32 v0, 1, v7
	v_add3_u32 v11, 0, v8, v0
	v_add_u32_e32 v3, 0, v0
	s_waitcnt lgkmcnt(0)
	s_barrier
	v_add_u32_e32 v0, v3, v8
	ds_read_u16 v28, v11
	ds_read_u16 v38, v0 offset:170
	ds_read_u16 v37, v0 offset:340
	;; [unrolled: 1-line block ×10, first 2 shown]
	v_pk_mul_f16 v54, v69, s40 op_sel_hi:[0,1]
	v_pk_fma_f16 v71, v62, s22, v54 op_sel_hi:[0,1,1]
	v_pk_add_f16 v4, v4, v71
	s_waitcnt lgkmcnt(0)
	s_barrier
	s_and_saveexec_b64 s[2:3], s[0:1]
	s_cbranch_execz .LBB0_14
; %bb.13:
	v_perm_b32 v72, v6, v6, s30
	v_add_f16_e32 v6, v6, v12
	v_add_f16_e32 v6, v6, v13
	v_pack_b32_f16 v70, v70, v70
	v_add_f16_e32 v6, v6, v14
	s_mov_b32 s1, 0xb964b5c8
	v_pack_b32_f16 v71, v55, v55
	v_pack_b32_f16 v63, v63, v63
	v_pk_mul_f16 v80, v55, s4 op_sel_hi:[0,1]
	v_add_f16_e32 v6, v6, v15
	s_mov_b32 s0, 0x39e93b76
	v_pk_mul_f16 v13, v70, s1
	s_mov_b32 s4, 0xbbf7b964
	v_pack_b32_f16 v73, v56, v56
	v_add_f16_e32 v6, v6, v16
	v_pk_fma_f16 v12, v71, s0, v13 neg_lo:[0,0,1] neg_hi:[0,0,1]
	s_mov_b32 s1, 0x2de839e9
	v_pk_mul_f16 v14, v63, s4
	v_pack_b32_f16 v64, v64, v64
	v_pk_mul_f16 v81, v56, s5 op_sel_hi:[0,1]
	v_add_f16_e32 v6, v6, v17
	v_pk_add_f16 v12, v72, v12
	v_pk_fma_f16 v15, v73, s1, v14 neg_lo:[0,0,1] neg_hi:[0,0,1]
	s_mov_b32 s5, 0xba62bb29
	v_pack_b32_f16 v74, v57, v57
	v_add_f16_e32 v6, v6, v18
	v_pk_add_f16 v12, v12, v15
	s_mov_b32 s4, 0xb8d23722
	v_pk_mul_f16 v15, v64, s5
	v_pack_b32_f16 v65, v65, v65
	v_pk_mul_f16 v82, v57, s6 op_sel_hi:[0,1]
	v_add_f16_e32 v6, v6, v19
	v_pk_fma_f16 v16, v74, s4, v15 neg_lo:[0,0,1] neg_hi:[0,0,1]
	s_mov_b32 s6, 0xb1e1bbf7
	v_pack_b32_f16 v75, v58, v58
	v_add_f16_e32 v6, v6, v27
	v_pk_add_f16 v12, v12, v16
	s_mov_b32 s5, 0xbbdd2de8
	v_pk_mul_f16 v16, v65, s6
	v_pack_b32_f16 v66, v66, v66
	v_pk_mul_f16 v83, v58, s7 op_sel_hi:[0,1]
	v_add_f16_e32 v6, v26, v6
	v_pk_fma_f16 v17, v75, s5, v16 neg_lo:[0,0,1] neg_hi:[0,0,1]
	s_mov_b32 s7, 0x3836bbb2
	v_pack_b32_f16 v76, v59, v59
	v_add_f16_e32 v6, v25, v6
	v_pk_add_f16 v12, v12, v17
	s_mov_b32 s6, 0xbacdb461
	v_pk_mul_f16 v17, v66, s7
	v_pk_fma_f16 v13, v71, s0, v13
	v_pack_b32_f16 v67, v67, v67
	v_pk_mul_f16 v84, v59, s10 op_sel_hi:[0,1]
	v_add_f16_e32 v6, v24, v6
	v_pk_fma_f16 v18, v76, s6, v17 neg_lo:[0,0,1] neg_hi:[0,0,1]
	s_mov_b32 s10, 0x3bb2ba62
	v_pk_add_f16 v13, v72, v13
	v_pk_fma_f16 v14, v73, s1, v14
	v_pack_b32_f16 v77, v60, v60
	v_add_f16_e32 v6, v23, v6
	v_pk_add_f16 v12, v12, v18
	s_mov_b32 s7, 0xb461b8d2
	v_pk_mul_f16 v18, v67, s10
	v_pk_add_f16 v13, v13, v14
	v_pk_fma_f16 v14, v74, s4, v15
	v_pack_b32_f16 v68, v68, v68
	v_pk_mul_f16 v85, v60, s11 op_sel_hi:[0,1]
	v_add_f16_e32 v6, v22, v6
	v_pk_fma_f16 v19, v77, s7, v18 neg_lo:[0,0,1] neg_hi:[0,0,1]
	s_mov_b32 s11, 0x3b29b836
	v_pk_add_f16 v13, v13, v14
	v_pk_fma_f16 v14, v75, s5, v16
	v_pack_b32_f16 v78, v61, v61
	v_add_f16_e32 v6, v21, v6
	v_pk_add_f16 v12, v12, v19
	s_mov_b32 s10, 0x3722bacd
	v_pk_mul_f16 v19, v68, s11
	v_pk_add_f16 v13, v13, v14
	v_pk_fma_f16 v14, v76, s6, v17
	v_pack_b32_f16 v69, v69, v69
	v_pk_mul_f16 v86, v61, s14 op_sel_hi:[0,1]
	v_add_f16_e32 v6, v20, v6
	v_pk_fma_f16 v20, v78, s10, v19 neg_lo:[0,0,1] neg_hi:[0,0,1]
	s_mov_b32 s14, 0x35c8b1e1
	v_pk_add_f16 v13, v13, v14
	v_pk_fma_f16 v14, v77, s7, v18
	v_pack_b32_f16 v79, v62, v62
	v_pk_add_f16 v12, v12, v20
	s_mov_b32 s11, 0x3b76bbdd
	v_pk_mul_f16 v20, v69, s14
	v_pk_add_f16 v13, v13, v14
	v_pk_fma_f16 v14, v78, s10, v19
	v_pk_add_f16 v13, v13, v14
	v_pk_fma_f16 v14, v79, s11, v20
	v_pk_add_f16 v16, v13, v14
	v_pk_add_f16 v13, v80, v39 neg_lo:[0,1] neg_hi:[0,1]
	v_pk_add_f16 v13, v72, v13
	v_pk_add_f16 v14, v81, v40 neg_lo:[0,1] neg_hi:[0,1]
	;; [unrolled: 2-line block ×6, first 2 shown]
	v_pk_mul_f16 v87, v62, s23 op_sel_hi:[0,1]
	v_pk_add_f16 v13, v13, v14
	v_pk_add_f16 v14, v86, v45 neg_lo:[0,1] neg_hi:[0,1]
	v_pk_mul_f16 v55, v55, s15 op_sel_hi:[0,1]
	v_pk_add_f16 v13, v13, v14
	v_pk_add_f16 v14, v87, v46 neg_lo:[0,1] neg_hi:[0,1]
	;; [unrolled: 3-line block ×9, first 2 shown]
	s_mov_b32 s1, 0xb1e1b836
	v_pk_add_f16 v14, v14, v15
	v_pk_add_f16 v15, v62, v54 neg_lo:[0,1] neg_hi:[0,1]
	s_mov_b32 s0, 0xbbddbacd
	v_pk_mul_f16 v17, v70, s1
	s_mov_b32 s4, 0x35c83b29
	v_pk_add_f16 v14, v14, v15
	v_pk_fma_f16 v15, v71, s0, v17 neg_lo:[0,0,1] neg_hi:[0,0,1]
	s_mov_b32 s1, 0x3b763722
	v_pk_mul_f16 v18, v63, s4
	v_pk_add_f16 v15, v72, v15
	v_pk_fma_f16 v19, v73, s1, v18 neg_lo:[0,0,1] neg_hi:[0,0,1]
	s_mov_b32 s5, 0xb836bbf7
	v_pk_add_f16 v15, v15, v19
	s_mov_b32 s4, 0xbacd2de8
	v_pk_mul_f16 v19, v64, s5
	v_pk_fma_f16 v21, v79, s11, v20 neg_lo:[0,0,1] neg_hi:[0,0,1]
	v_pk_fma_f16 v20, v74, s4, v19 neg_lo:[0,0,1] neg_hi:[0,0,1]
	s_mov_b32 s6, 0x39643a62
	v_pk_add_f16 v15, v15, v20
	s_mov_b32 s5, 0x39e9b8d2
	v_pk_mul_f16 v20, v65, s6
	v_pk_add_f16 v12, v12, v21
	v_pk_fma_f16 v21, v75, s5, v20 neg_lo:[0,0,1] neg_hi:[0,0,1]
	s_mov_b32 s7, 0xba62b5c8
	v_pk_add_f16 v15, v15, v21
	s_mov_b32 s6, 0xb8d23b76
	v_pk_mul_f16 v21, v66, s7
	v_pk_fma_f16 v17, v71, s0, v17
	v_pk_fma_f16 v22, v76, s6, v21 neg_lo:[0,0,1] neg_hi:[0,0,1]
	s_mov_b32 s10, 0x3b29b1e1
	v_pk_add_f16 v17, v72, v17
	v_pk_fma_f16 v18, v73, s1, v18
	v_pk_add_f16 v15, v15, v22
	s_mov_b32 s7, 0x3722bbdd
	v_pk_mul_f16 v22, v67, s10
	v_pk_add_f16 v17, v17, v18
	v_pk_fma_f16 v18, v74, s4, v19
	v_pk_fma_f16 v23, v77, s7, v22 neg_lo:[0,0,1] neg_hi:[0,0,1]
	s_mov_b32 s11, 0xbbb23964
	v_pk_add_f16 v17, v17, v18
	v_pk_fma_f16 v18, v75, s5, v20
	v_pk_add_f16 v15, v15, v23
	s_mov_b32 s10, 0xb46139e9
	v_pk_mul_f16 v23, v68, s11
	v_pk_add_f16 v17, v17, v18
	v_pk_fma_f16 v18, v76, s6, v21
	v_pk_fma_f16 v24, v78, s10, v23 neg_lo:[0,0,1] neg_hi:[0,0,1]
	s_mov_b32 s14, 0x3bf7bbb2
	v_pk_add_f16 v17, v17, v18
	v_pk_fma_f16 v18, v77, s7, v22
	v_pk_add_f16 v15, v15, v24
	s_mov_b32 s11, 0x2de8b461
	v_pk_mul_f16 v24, v69, s14
	v_pk_add_f16 v17, v17, v18
	v_pk_fma_f16 v18, v78, s10, v23
	v_pk_add_f16 v17, v17, v18
	v_pk_fma_f16 v18, v79, s11, v24
	v_pk_add_f16 v17, v17, v18
	v_lshlrev_b32_e32 v18, 5, v7
	v_pk_fma_f16 v25, v79, s11, v24 neg_lo:[0,0,1] neg_hi:[0,0,1]
	v_add3_u32 v18, v3, v18, v8
	v_pk_add_f16 v15, v15, v25
	ds_write_b16 v18, v6
	v_alignbit_b32 v13, v13, v13, 16
	v_alignbit_b32 v14, v14, v14, 16
	;; [unrolled: 1-line block ×4, first 2 shown]
	ds_write_b128 v18, v[12:15] offset:2
	ds_write_b128 v18, v[3:6] offset:18
.LBB0_14:
	s_or_b64 exec, exec, s[2:3]
	s_movk_i32 s0, 0xf1
	v_mul_lo_u16_sdwa v3, v7, s0 dst_sel:DWORD dst_unused:UNUSED_PAD src0_sel:BYTE_0 src1_sel:DWORD
	v_lshrrev_b16_e32 v6, 12, v3
	v_mul_lo_u16_e32 v3, 17, v6
	v_sub_u16_e32 v44, v7, v3
	v_mov_b32_e32 v3, 10
	v_mul_u32_u24_sdwa v3, v44, v3 dst_sel:DWORD dst_unused:UNUSED_PAD src0_sel:BYTE_0 src1_sel:DWORD
	v_lshlrev_b32_e32 v3, 2, v3
	s_waitcnt lgkmcnt(0)
	s_barrier
	global_load_dwordx4 v[14:17], v3, s[8:9]
	global_load_dwordx4 v[18:21], v3, s[8:9] offset:16
	global_load_dwordx2 v[42:43], v3, s[8:9] offset:32
	ds_read_u16 v13, v11
	ds_read_u16 v3, v0 offset:170
	ds_read_u16 v12, v0 offset:340
	ds_read_u16 v22, v0 offset:510
	ds_read_u16 v23, v0 offset:680
	ds_read_u16 v24, v0 offset:850
	ds_read_u16 v27, v0 offset:1020
	ds_read_u16 v45, v0 offset:1190
	ds_read_u16 v46, v0 offset:1360
	ds_read_u16 v47, v0 offset:1530
	ds_read_u16 v48, v0 offset:1700
	s_movk_i32 s2, 0x3abb
	s_movk_i32 s0, 0x36a6
	s_mov_b32 s1, 0xb08e
	s_mov_b32 s3, 0xb93d
	;; [unrolled: 1-line block ×3, first 2 shown]
	s_waitcnt vmcnt(0) lgkmcnt(0)
	s_barrier
	s_mov_b32 s6, 0xb853
	s_mov_b32 s4, 0xbb47
	;; [unrolled: 1-line block ×5, first 2 shown]
	s_movk_i32 s11, 0x3482
	s_movk_i32 s16, 0x3853
	;; [unrolled: 1-line block ×3, first 2 shown]
	v_mul_f16_sdwa v25, v3, v14 dst_sel:DWORD dst_unused:UNUSED_PAD src0_sel:DWORD src1_sel:WORD_1
	v_mul_f16_sdwa v26, v38, v14 dst_sel:DWORD dst_unused:UNUSED_PAD src0_sel:DWORD src1_sel:WORD_1
	;; [unrolled: 1-line block ×3, first 2 shown]
	v_fma_f16 v40, v38, v14, v25
	v_mul_f16_sdwa v50, v22, v16 dst_sel:DWORD dst_unused:UNUSED_PAD src0_sel:DWORD src1_sel:WORD_1
	v_fma_f16 v41, v3, v14, -v26
	v_fma_f16 v38, v37, v15, v39
	v_add_f16_e32 v3, v28, v40
	v_mul_f16_sdwa v51, v36, v16 dst_sel:DWORD dst_unused:UNUSED_PAD src0_sel:DWORD src1_sel:WORD_1
	v_mul_f16_sdwa v52, v23, v17 dst_sel:DWORD dst_unused:UNUSED_PAD src0_sel:DWORD src1_sel:WORD_1
	v_fma_f16 v36, v36, v16, v50
	v_add_f16_e32 v3, v3, v38
	v_mul_f16_sdwa v49, v37, v15 dst_sel:DWORD dst_unused:UNUSED_PAD src0_sel:DWORD src1_sel:WORD_1
	v_mul_f16_sdwa v54, v24, v18 dst_sel:DWORD dst_unused:UNUSED_PAD src0_sel:DWORD src1_sel:WORD_1
	v_fma_f16 v25, v35, v17, v52
	v_add_f16_e32 v3, v3, v36
	v_mul_f16_sdwa v53, v35, v17 dst_sel:DWORD dst_unused:UNUSED_PAD src0_sel:DWORD src1_sel:WORD_1
	v_mul_f16_sdwa v56, v27, v19 dst_sel:DWORD dst_unused:UNUSED_PAD src0_sel:DWORD src1_sel:WORD_1
	v_fma_f16 v39, v12, v15, -v49
	v_fma_f16 v12, v34, v18, v54
	v_add_f16_e32 v3, v3, v25
	v_mul_f16_sdwa v55, v34, v18 dst_sel:DWORD dst_unused:UNUSED_PAD src0_sel:DWORD src1_sel:WORD_1
	v_mul_f16_sdwa v57, v33, v19 dst_sel:DWORD dst_unused:UNUSED_PAD src0_sel:DWORD src1_sel:WORD_1
	;; [unrolled: 1-line block ×3, first 2 shown]
	v_fma_f16 v26, v23, v17, -v53
	v_fma_f16 v23, v33, v19, v56
	v_add_f16_e32 v3, v3, v12
	v_mul_f16_sdwa v60, v46, v21 dst_sel:DWORD dst_unused:UNUSED_PAD src0_sel:DWORD src1_sel:WORD_1
	v_fma_f16 v37, v22, v16, -v51
	v_fma_f16 v22, v24, v18, -v55
	;; [unrolled: 1-line block ×3, first 2 shown]
	v_fma_f16 v27, v32, v20, v58
	v_add_f16_e32 v3, v3, v23
	v_mul_f16_sdwa v61, v31, v21 dst_sel:DWORD dst_unused:UNUSED_PAD src0_sel:DWORD src1_sel:WORD_1
	v_mul_f16_sdwa v62, v47, v42 dst_sel:DWORD dst_unused:UNUSED_PAD src0_sel:DWORD src1_sel:WORD_1
	;; [unrolled: 1-line block ×3, first 2 shown]
	v_fma_f16 v31, v31, v21, v60
	v_add_f16_e32 v3, v3, v27
	v_mul_f16_sdwa v63, v30, v42 dst_sel:DWORD dst_unused:UNUSED_PAD src0_sel:DWORD src1_sel:WORD_1
	v_mul_f16_sdwa v64, v48, v43 dst_sel:DWORD dst_unused:UNUSED_PAD src0_sel:DWORD src1_sel:WORD_1
	v_fma_f16 v30, v30, v42, v62
	v_fma_f16 v35, v48, v43, -v65
	v_add_f16_e32 v3, v3, v31
	v_fma_f16 v29, v29, v43, v64
	v_sub_f16_e32 v15, v41, v35
	v_add_f16_e32 v3, v3, v30
	v_mul_f16_sdwa v59, v32, v20 dst_sel:DWORD dst_unused:UNUSED_PAD src0_sel:DWORD src1_sel:WORD_1
	v_fma_f16 v34, v47, v42, -v63
	v_add_f16_e32 v14, v40, v29
	v_mul_f16_e32 v16, 0xb853, v15
	v_mul_f16_e32 v17, 0xbb47, v15
	;; [unrolled: 1-line block ×3, first 2 shown]
	v_add_f16_e32 v42, v3, v29
	v_mul_f16_e32 v3, 0xba0c, v15
	v_mul_f16_e32 v15, 0xb482, v15
	v_fma_f16 v32, v45, v20, -v59
	v_fma_f16 v33, v46, v21, -v61
	v_fma_f16 v19, v14, s2, v16
	v_fma_f16 v16, v14, s2, -v16
	v_fma_f16 v20, v14, s0, v17
	;; [unrolled: 2-line block ×5, first 2 shown]
	v_fma_f16 v14, v14, s14, -v15
	v_add_f16_e32 v19, v28, v19
	v_add_f16_e32 v16, v28, v16
	;; [unrolled: 1-line block ×10, first 2 shown]
	v_sub_f16_e32 v28, v39, v34
	v_add_f16_e32 v15, v38, v30
	v_mul_f16_e32 v46, 0xbb47, v28
	v_fma_f16 v47, v15, s0, v46
	v_fma_f16 v46, v15, s0, -v46
	v_add_f16_e32 v16, v46, v16
	v_mul_f16_e32 v46, 0xba0c, v28
	v_add_f16_e32 v19, v47, v19
	v_fma_f16 v47, v15, s3, v46
	v_fma_f16 v46, v15, s3, -v46
	v_add_f16_e32 v17, v46, v17
	v_mul_f16_e32 v46, 0x3482, v28
	v_add_f16_e32 v20, v47, v20
	;; [unrolled: 5-line block ×3, first 2 shown]
	v_fma_f16 v47, v15, s1, v46
	v_fma_f16 v46, v15, s1, -v46
	v_mul_f16_e32 v28, 0x3853, v28
	v_add_f16_e32 v3, v46, v3
	v_fma_f16 v46, v15, s2, v28
	v_fma_f16 v15, v15, s2, -v28
	v_sub_f16_e32 v28, v37, v33
	v_add_f16_e32 v45, v46, v45
	v_add_f16_e32 v14, v15, v14
	;; [unrolled: 1-line block ×3, first 2 shown]
	v_mul_f16_e32 v46, 0xbbeb, v28
	v_add_f16_e32 v43, v47, v43
	v_fma_f16 v47, v15, s1, v46
	v_fma_f16 v46, v15, s1, -v46
	v_add_f16_e32 v16, v46, v16
	v_mul_f16_e32 v46, 0x3482, v28
	v_add_f16_e32 v19, v47, v19
	v_fma_f16 v47, v15, s14, v46
	v_fma_f16 v46, v15, s14, -v46
	v_add_f16_e32 v17, v46, v17
	;; [unrolled: 5-line block ×3, first 2 shown]
	v_mul_f16_e32 v46, 0xb853, v28
	v_add_f16_e32 v21, v47, v21
	v_fma_f16 v47, v15, s2, v46
	v_fma_f16 v46, v15, s2, -v46
	v_mul_f16_e32 v28, 0xba0c, v28
	v_add_f16_e32 v3, v46, v3
	v_fma_f16 v46, v15, s3, v28
	v_fma_f16 v15, v15, s3, -v28
	v_sub_f16_e32 v28, v26, v32
	v_add_f16_e32 v45, v46, v45
	v_add_f16_e32 v14, v15, v14
	;; [unrolled: 1-line block ×3, first 2 shown]
	v_mul_f16_e32 v46, 0xba0c, v28
	v_add_f16_e32 v43, v47, v43
	v_fma_f16 v47, v15, s3, v46
	v_fma_f16 v46, v15, s3, -v46
	v_add_f16_e32 v16, v46, v16
	v_mul_f16_e32 v46, 0x3beb, v28
	v_add_f16_e32 v19, v47, v19
	v_fma_f16 v47, v15, s1, v46
	v_fma_f16 v46, v15, s1, -v46
	v_add_f16_e32 v17, v46, v17
	;; [unrolled: 5-line block ×4, first 2 shown]
	v_mul_f16_e32 v3, 0x3b47, v28
	v_fma_f16 v28, v15, s0, v3
	v_add_f16_e32 v28, v28, v45
	v_fma_f16 v3, v15, s0, -v3
	v_sub_f16_e32 v45, v22, v24
	v_add_f16_e32 v14, v3, v14
	v_add_f16_e32 v15, v12, v23
	v_mul_f16_e32 v3, 0xb482, v45
	v_add_f16_e32 v43, v47, v43
	v_fma_f16 v47, v15, s14, v3
	v_fma_f16 v3, v15, s14, -v3
	v_add_f16_e32 v3, v3, v16
	v_mul_f16_e32 v16, 0x3853, v45
	v_add_f16_e32 v19, v47, v19
	v_fma_f16 v47, v15, s2, v16
	v_fma_f16 v16, v15, s2, -v16
	;; [unrolled: 5-line block ×4, first 2 shown]
	v_mul_f16_e32 v45, 0xbbeb, v45
	v_add_f16_e32 v18, v18, v46
	v_fma_f16 v46, v15, s1, v45
	v_fma_f16 v15, v15, s1, -v45
	v_add_f16_e32 v14, v15, v14
	s_movk_i32 s0, 0x176
	v_mov_b32_e32 v15, 1
	v_mad_u32_u24 v6, v6, s0, 0
	v_lshlrev_b32_sdwa v15, v15, v44 dst_sel:DWORD dst_unused:UNUSED_PAD src0_sel:DWORD src1_sel:BYTE_0
	v_add_f16_e32 v46, v46, v28
	v_add3_u32 v28, v6, v15, v8
	v_add_f16_e32 v43, v47, v43
	ds_write_b16 v28, v42
	ds_write_b16 v28, v19 offset:34
	ds_write_b16 v28, v20 offset:68
	;; [unrolled: 1-line block ×10, first 2 shown]
	s_waitcnt lgkmcnt(0)
	s_barrier
	ds_read_u16 v6, v11
	ds_read_u16 v18, v0 offset:1292
	ds_read_u16 v8, v0 offset:1122
	;; [unrolled: 1-line block ×9, first 2 shown]
	s_movk_i32 s14, 0x3beb
	v_cmp_gt_u32_e64 s[0:1], 17, v7
	s_and_saveexec_b64 s[2:3], s[0:1]
	s_cbranch_execz .LBB0_16
; %bb.15:
	ds_read_u16 v1, v0 offset:1462
	ds_read_u16 v2, v0 offset:1836
	;; [unrolled: 1-line block ×5, first 2 shown]
	s_mov_b32 s17, 0x5040100
	s_waitcnt lgkmcnt(3)
	v_perm_b32 v2, v2, v1, s17
	s_waitcnt lgkmcnt(1)
	v_perm_b32 v1, v43, v42, s17
.LBB0_16:
	s_or_b64 exec, exec, s[2:3]
	v_add_f16_e32 v42, v13, v41
	v_add_f16_e32 v42, v42, v39
	;; [unrolled: 1-line block ×11, first 2 shown]
	v_sub_f16_e32 v29, v40, v29
	v_mul_f16_e32 v40, 0x3abb, v35
	v_mul_f16_e32 v43, 0x36a6, v35
	;; [unrolled: 1-line block ×4, first 2 shown]
	s_movk_i32 s2, 0x3a0c
	v_mul_f16_e32 v35, 0xbbad, v35
	v_fma_f16 v41, v29, s16, v40
	v_fma_f16 v40, v29, s6, v40
	;; [unrolled: 1-line block ×10, first 2 shown]
	v_add_f16_e32 v41, v13, v41
	v_add_f16_e32 v40, v13, v40
	;; [unrolled: 1-line block ×11, first 2 shown]
	v_sub_f16_e32 v30, v38, v30
	v_mul_f16_e32 v34, 0x36a6, v29
	v_fma_f16 v35, v30, s15, v34
	v_fma_f16 v34, v30, s4, v34
	v_mul_f16_e32 v38, 0xb93d, v29
	v_add_f16_e32 v34, v34, v40
	v_fma_f16 v39, v30, s2, v38
	v_fma_f16 v38, v30, s7, v38
	v_mul_f16_e32 v40, 0xbbad, v29
	v_add_f16_e32 v35, v35, v41
	v_add_f16_e32 v38, v38, v43
	v_fma_f16 v41, v30, s10, v40
	v_fma_f16 v40, v30, s11, v40
	v_mul_f16_e32 v43, 0xb08e, v29
	v_mul_f16_e32 v29, 0x3abb, v29
	v_add_f16_e32 v40, v40, v45
	v_fma_f16 v45, v30, s6, v29
	v_fma_f16 v29, v30, s16, v29
	v_add_f16_e32 v13, v29, v13
	v_add_f16_e32 v29, v37, v33
	;; [unrolled: 1-line block ×3, first 2 shown]
	v_fma_f16 v44, v30, s5, v43
	v_fma_f16 v43, v30, s14, v43
	v_sub_f16_e32 v30, v36, v31
	v_mul_f16_e32 v31, 0xb08e, v29
	v_fma_f16 v33, v30, s14, v31
	v_fma_f16 v31, v30, s5, v31
	v_add_f16_e32 v31, v31, v34
	v_mul_f16_e32 v34, 0xbbad, v29
	v_add_f16_e32 v33, v33, v35
	v_fma_f16 v35, v30, s10, v34
	v_fma_f16 v34, v30, s11, v34
	v_mul_f16_e32 v36, 0x36a6, v29
	v_add_f16_e32 v34, v34, v38
	v_fma_f16 v37, v30, s4, v36
	v_fma_f16 v36, v30, s15, v36
	v_mul_f16_e32 v38, 0x3abb, v29
	v_mul_f16_e32 v29, 0xb93d, v29
	v_add_f16_e32 v26, v26, v32
	v_add_f16_e32 v36, v36, v40
	v_fma_f16 v40, v30, s2, v29
	v_fma_f16 v29, v30, s7, v29
	v_sub_f16_e32 v25, v25, v27
	v_mul_f16_e32 v27, 0xb93d, v26
	v_add_f16_e32 v35, v35, v39
	v_fma_f16 v39, v30, s16, v38
	v_fma_f16 v38, v30, s6, v38
	v_add_f16_e32 v13, v29, v13
	v_fma_f16 v29, v25, s2, v27
	v_fma_f16 v27, v25, s7, v27
	v_mul_f16_e32 v30, 0xb08e, v26
	v_add_f16_e32 v27, v27, v31
	v_fma_f16 v31, v25, s5, v30
	v_fma_f16 v30, v25, s14, v30
	v_mul_f16_e32 v32, 0x3abb, v26
	v_add_f16_e32 v29, v29, v33
	v_add_f16_e32 v30, v30, v34
	v_fma_f16 v33, v25, s16, v32
	v_fma_f16 v32, v25, s6, v32
	v_mul_f16_e32 v34, 0xbbad, v26
	v_mul_f16_e32 v26, 0x36a6, v26
	v_add_f16_e32 v31, v31, v35
	v_add_f16_e32 v32, v32, v36
	v_fma_f16 v35, v25, s11, v34
	v_fma_f16 v34, v25, s10, v34
	;; [unrolled: 1-line block ×4, first 2 shown]
	v_add_f16_e32 v22, v22, v24
	v_add_f16_e32 v25, v25, v13
	v_sub_f16_e32 v12, v12, v23
	v_mul_f16_e32 v13, 0xbbad, v22
	v_mul_f16_e32 v24, 0x3abb, v22
	v_add_f16_e32 v41, v41, v46
	v_add_f16_e32 v44, v44, v48
	;; [unrolled: 1-line block ×3, first 2 shown]
	v_fma_f16 v23, v12, s11, v13
	v_fma_f16 v13, v12, s10, v13
	;; [unrolled: 1-line block ×4, first 2 shown]
	v_add_f16_e32 v45, v45, v49
	v_add_f16_e32 v37, v37, v41
	;; [unrolled: 1-line block ×6, first 2 shown]
	v_mul_f16_e32 v27, 0xb93d, v22
	v_mul_f16_e32 v30, 0x36a6, v22
	v_add_f16_e32 v40, v40, v45
	v_add_f16_e32 v33, v33, v37
	;; [unrolled: 1-line block ×6, first 2 shown]
	v_fma_f16 v29, v12, s2, v27
	v_fma_f16 v27, v12, s7, v27
	;; [unrolled: 1-line block ×4, first 2 shown]
	v_mul_f16_e32 v22, 0xb08e, v22
	v_add_f16_e32 v36, v36, v40
	v_add_f16_e32 v29, v29, v33
	;; [unrolled: 1-line block ×5, first 2 shown]
	v_fma_f16 v32, v12, s14, v22
	v_fma_f16 v12, v12, s5, v22
	v_add_f16_e32 v32, v32, v36
	v_add_f16_e32 v12, v12, v25
	s_waitcnt lgkmcnt(0)
	s_barrier
	ds_write_b16 v28, v42
	ds_write_b16 v28, v23 offset:34
	ds_write_b16 v28, v26 offset:68
	;; [unrolled: 1-line block ×10, first 2 shown]
	s_waitcnt lgkmcnt(0)
	s_barrier
	ds_read_u16 v22, v11
	ds_read_u16 v28, v0 offset:1292
	ds_read_u16 v23, v0 offset:1122
	;; [unrolled: 1-line block ×9, first 2 shown]
	s_and_saveexec_b64 s[2:3], s[0:1]
	s_cbranch_execz .LBB0_18
; %bb.17:
	ds_read_u16 v4, v0 offset:1462
	ds_read_u16 v5, v0 offset:1836
	;; [unrolled: 1-line block ×5, first 2 shown]
	s_mov_b32 s4, 0x5040100
	s_waitcnt lgkmcnt(3)
	v_perm_b32 v5, v5, v4, s4
	s_waitcnt lgkmcnt(1)
	v_perm_b32 v4, v12, v11, s4
.LBB0_18:
	s_or_b64 exec, exec, s[2:3]
	s_and_saveexec_b64 s[2:3], vcc
	s_cbranch_execz .LBB0_21
; %bb.19:
	v_add_u32_e32 v0, 0x55, v7
	v_lshlrev_b32_e32 v11, 2, v0
	v_mov_b32_e32 v12, 0
	v_lshlrev_b64 v[32:33], 2, v[11:12]
	v_mov_b32_e32 v38, s9
	v_add_co_u32_e32 v32, vcc, s8, v32
	v_addc_co_u32_e32 v33, vcc, v38, v33, vcc
	global_load_dwordx4 v[32:35], v[32:33], off offset:680
	v_lshlrev_b32_e32 v11, 2, v7
	v_lshlrev_b64 v[36:37], 2, v[11:12]
	s_movk_i32 s5, 0x3b9c
	v_add_co_u32_e32 v36, vcc, s8, v36
	v_addc_co_u32_e32 v37, vcc, v38, v37, vcc
	global_load_dwordx4 v[36:39], v[36:37], off offset:680
	s_mov_b32 s6, 0xbb9c
	s_mov_b32 s3, 0xb8b4
	s_movk_i32 s4, 0x38b4
	s_movk_i32 s2, 0x34f2
	s_mov_b32 s7, 0xaf3addc7
	v_mul_hi_u32 v0, v0, s7
	v_lshrrev_b32_e32 v0, 7, v0
	s_waitcnt vmcnt(1)
	v_mul_f16_sdwa v11, v20, v33 dst_sel:DWORD dst_unused:UNUSED_PAD src0_sel:DWORD src1_sel:WORD_1
	v_mul_f16_sdwa v40, v19, v32 dst_sel:DWORD dst_unused:UNUSED_PAD src0_sel:DWORD src1_sel:WORD_1
	;; [unrolled: 1-line block ×4, first 2 shown]
	s_waitcnt lgkmcnt(6)
	v_mul_f16_sdwa v43, v29, v33 dst_sel:DWORD dst_unused:UNUSED_PAD src0_sel:DWORD src1_sel:WORD_1
	s_waitcnt lgkmcnt(4)
	v_mul_f16_sdwa v45, v30, v32 dst_sel:DWORD dst_unused:UNUSED_PAD src0_sel:DWORD src1_sel:WORD_1
	;; [unrolled: 2-line block ×3, first 2 shown]
	v_mul_f16_sdwa v44, v28, v34 dst_sel:DWORD dst_unused:UNUSED_PAD src0_sel:DWORD src1_sel:WORD_1
	v_fma_f16 v11, v29, v33, -v11
	v_fma_f16 v29, v30, v32, -v40
	;; [unrolled: 1-line block ×4, first 2 shown]
	v_fma_f16 v20, v20, v33, v43
	v_fma_f16 v19, v19, v32, v45
	;; [unrolled: 1-line block ×4, first 2 shown]
	v_sub_f16_e32 v31, v11, v29
	v_sub_f16_e32 v32, v28, v30
	v_add_f16_e32 v34, v29, v30
	v_sub_f16_e32 v35, v19, v21
	v_sub_f16_e32 v40, v20, v19
	;; [unrolled: 1-line block ×3, first 2 shown]
	v_add_f16_e32 v43, v19, v21
	v_sub_f16_e32 v45, v29, v11
	v_add_f16_e32 v47, v11, v28
	v_sub_f16_e32 v48, v19, v20
	v_add_f16_e32 v29, v27, v29
	v_add_f16_e32 v19, v17, v19
	v_sub_f16_e32 v33, v20, v18
	v_sub_f16_e32 v41, v18, v21
	;; [unrolled: 1-line block ×3, first 2 shown]
	v_add_f16_e32 v50, v20, v18
	v_add_f16_e32 v31, v31, v32
	v_fma_f16 v32, v34, -0.5, v27
	v_fma_f16 v27, v47, -0.5, v27
	v_add_f16_e32 v11, v11, v29
	v_add_f16_e32 v19, v20, v19
	v_sub_f16_e32 v46, v30, v28
	v_sub_f16_e32 v49, v21, v18
	v_add_f16_e32 v34, v40, v41
	v_fma_f16 v40, v43, -0.5, v17
	v_fma_f16 v17, v50, -0.5, v17
	v_fma_f16 v20, v33, s5, v32
	v_fma_f16 v32, v33, s6, v32
	v_add_f16_e32 v11, v28, v11
	v_add_f16_e32 v18, v19, v18
	v_fma_f16 v19, v35, s6, v27
	v_add_f16_e32 v41, v45, v46
	v_fma_f16 v29, v44, s6, v40
	v_fma_f16 v40, v44, s5, v40
	v_fma_f16 v45, v35, s5, v27
	v_fma_f16 v46, v42, s6, v17
	v_fma_f16 v17, v42, s5, v17
	v_fma_f16 v20, v35, s3, v20
	v_fma_f16 v28, v35, s4, v32
	v_add_f16_e32 v30, v11, v30
	v_fma_f16 v11, v33, s3, v19
	v_add_f16_e32 v43, v48, v49
	v_fma_f16 v27, v42, s4, v29
	v_fma_f16 v29, v42, s3, v40
	;; [unrolled: 1-line block ×4, first 2 shown]
	v_add_f16_e32 v18, v18, v21
	v_fma_f16 v19, v31, s2, v20
	v_fma_f16 v21, v31, s2, v28
	;; [unrolled: 1-line block ×9, first 2 shown]
	s_waitcnt vmcnt(0)
	v_mul_f16_sdwa v11, v15, v36 dst_sel:DWORD dst_unused:UNUSED_PAD src0_sel:DWORD src1_sel:WORD_1
	v_mul_f16_sdwa v32, v14, v37 dst_sel:DWORD dst_unused:UNUSED_PAD src0_sel:DWORD src1_sel:WORD_1
	;; [unrolled: 1-line block ×4, first 2 shown]
	v_fma_f16 v11, v25, v36, -v11
	v_fma_f16 v32, v24, v37, -v32
	;; [unrolled: 1-line block ×4, first 2 shown]
	v_mul_f16_sdwa v25, v25, v36 dst_sel:DWORD dst_unused:UNUSED_PAD src0_sel:DWORD src1_sel:WORD_1
	v_sub_f16_e32 v33, v11, v32
	v_sub_f16_e32 v40, v34, v35
	v_fma_f16 v15, v15, v36, v25
	v_mul_f16_sdwa v25, v26, v39 dst_sel:DWORD dst_unused:UNUSED_PAD src0_sel:DWORD src1_sel:WORD_1
	v_add_f16_e32 v33, v33, v40
	v_add_f16_e32 v40, v32, v35
	v_fma_f16 v16, v16, v39, v25
	v_mul_f16_sdwa v24, v24, v37 dst_sel:DWORD dst_unused:UNUSED_PAD src0_sel:DWORD src1_sel:WORD_1
	v_mul_f16_sdwa v23, v23, v38 dst_sel:DWORD dst_unused:UNUSED_PAD src0_sel:DWORD src1_sel:WORD_1
	v_fma_f16 v40, v40, -0.5, v22
	v_sub_f16_e32 v25, v15, v16
	v_fma_f16 v14, v14, v37, v24
	v_fma_f16 v8, v8, v38, v23
	;; [unrolled: 1-line block ×3, first 2 shown]
	v_sub_f16_e32 v23, v14, v8
	v_fma_f16 v24, v23, s3, v26
	v_sub_f16_e32 v26, v15, v14
	v_sub_f16_e32 v36, v16, v8
	;; [unrolled: 1-line block ×4, first 2 shown]
	v_add_f16_e32 v26, v26, v36
	v_add_f16_e32 v36, v14, v8
	v_sub_f16_e32 v41, v32, v11
	v_sub_f16_e32 v42, v35, v34
	v_add_f16_e32 v44, v44, v45
	v_add_f16_e32 v45, v15, v16
	v_fma_f16 v36, v36, -0.5, v6
	v_add_f16_e32 v41, v41, v42
	v_add_f16_e32 v42, v11, v34
	v_fma_f16 v45, v45, -0.5, v6
	v_add_f16_e32 v6, v6, v15
	v_fma_f16 v42, v42, -0.5, v22
	v_add_f16_e32 v6, v6, v14
	v_sub_f16_e32 v37, v11, v34
	v_fma_f16 v43, v23, s5, v42
	v_fma_f16 v42, v23, s6, v42
	v_add_f16_e32 v11, v22, v11
	v_add_f16_e32 v6, v6, v8
	v_mov_b32_e32 v8, v12
	v_fma_f16 v43, v25, s3, v43
	v_fma_f16 v42, v25, s4, v42
	;; [unrolled: 1-line block ×3, first 2 shown]
	v_add_f16_e32 v11, v11, v32
	v_mov_b32_e32 v14, s13
	v_add_co_u32_e32 v15, vcc, s12, v9
	v_lshlrev_b64 v[8:9], 2, v[7:8]
	v_sub_f16_e32 v39, v32, v35
	v_fma_f16 v23, v23, s4, v25
	v_fma_f16 v25, v37, s6, v36
	v_add_f16_e32 v11, v11, v35
	v_addc_co_u32_e32 v10, vcc, v14, v10, vcc
	v_fma_f16 v43, v41, s2, v43
	v_fma_f16 v41, v41, s2, v42
	;; [unrolled: 1-line block ×4, first 2 shown]
	v_add_f16_e32 v11, v34, v11
	v_add_f16_e32 v6, v16, v6
	v_add_co_u32_e32 v8, vcc, v15, v8
	v_fma_f16 v46, v39, s6, v45
	v_fma_f16 v42, v37, s3, v42
	v_fma_f16 v23, v33, s2, v23
	v_fma_f16 v25, v26, s2, v25
	v_addc_co_u32_e32 v9, vcc, v10, v9, vcc
	v_pack_b32_f16 v6, v6, v11
	v_mul_u32_u24_e32 v11, 0x2ec, v0
	v_fma_f16 v38, v37, s5, v36
	v_fma_f16 v46, v37, s4, v46
	v_fma_f16 v42, v44, s2, v42
	global_store_dword v[8:9], v6, off
	v_pack_b32_f16 v6, v25, v23
	v_lshlrev_b64 v[10:11], 2, v[11:12]
	v_fma_f16 v38, v39, s4, v38
	v_fma_f16 v46, v44, s2, v46
	global_store_dword v[8:9], v6, off offset:748
	v_pack_b32_f16 v6, v42, v41
	v_fma_f16 v24, v33, s2, v24
	v_fma_f16 v38, v26, s2, v38
	global_store_dword v[8:9], v6, off offset:1496
	v_pack_b32_f16 v6, v46, v43
	v_add_co_u32_e32 v10, vcc, v8, v10
	global_store_dword v[8:9], v6, off offset:2244
	v_pack_b32_f16 v6, v38, v24
	v_addc_co_u32_e32 v11, vcc, v9, v11, vcc
	v_pack_b32_f16 v0, v18, v30
	global_store_dword v[8:9], v6, off offset:2992
	global_store_dword v[10:11], v0, off offset:340
	v_pack_b32_f16 v0, v29, v28
	global_store_dword v[10:11], v0, off offset:1088
	v_pack_b32_f16 v0, v27, v21
	;; [unrolled: 2-line block ×4, first 2 shown]
	global_store_dword v[10:11], v0, off offset:3332
	s_and_b64 exec, exec, s[0:1]
	s_cbranch_execz .LBB0_21
; %bb.20:
	v_not_b32_e32 v0, 16
	v_mov_b32_e32 v6, 0xaa
	v_cndmask_b32_e64 v0, v0, v6, s[0:1]
	v_add_lshl_u32 v11, v7, v0, 2
	v_lshlrev_b64 v[6:7], 2, v[11:12]
	v_mov_b32_e32 v0, s9
	v_add_co_u32_e32 v6, vcc, s8, v6
	v_addc_co_u32_e32 v7, vcc, v0, v7, vcc
	global_load_dwordx4 v[14:17], v[6:7], off offset:680
	v_lshrrev_b32_e32 v0, 16, v1
	v_lshrrev_b32_e32 v6, 16, v4
	;; [unrolled: 1-line block ×4, first 2 shown]
	s_waitcnt vmcnt(0)
	v_mul_f16_sdwa v11, v4, v14 dst_sel:DWORD dst_unused:UNUSED_PAD src0_sel:DWORD src1_sel:WORD_1
	v_mul_f16_sdwa v12, v1, v14 dst_sel:DWORD dst_unused:UNUSED_PAD src0_sel:DWORD src1_sel:WORD_1
	;; [unrolled: 1-line block ×8, first 2 shown]
	v_fma_f16 v1, v1, v14, v11
	v_fma_f16 v4, v4, v14, -v12
	v_fma_f16 v0, v0, v15, v18
	v_fma_f16 v6, v6, v15, -v19
	;; [unrolled: 2-line block ×4, first 2 shown]
	v_add_f16_e32 v11, v3, v1
	v_add_f16_e32 v12, v0, v2
	v_sub_f16_e32 v16, v1, v0
	v_sub_f16_e32 v17, v7, v2
	v_add_f16_e32 v21, v13, v4
	v_add_f16_e32 v22, v6, v5
	v_sub_f16_e32 v14, v4, v10
	v_sub_f16_e32 v15, v6, v5
	v_add_f16_e32 v18, v1, v7
	v_sub_f16_e32 v19, v0, v1
	v_sub_f16_e32 v1, v1, v7
	;; [unrolled: 1-line block ×4, first 2 shown]
	v_add_f16_e32 v26, v4, v10
	v_sub_f16_e32 v4, v6, v4
	v_add_f16_e32 v0, v11, v0
	v_fma_f16 v11, v12, -0.5, v3
	v_add_f16_e32 v12, v16, v17
	v_add_f16_e32 v6, v21, v6
	v_fma_f16 v17, v22, -0.5, v13
	v_sub_f16_e32 v20, v2, v7
	v_sub_f16_e32 v25, v10, v5
	v_sub_f16_e32 v27, v5, v10
	v_fma_f16 v3, v18, -0.5, v3
	v_fma_f16 v13, v26, -0.5, v13
	v_add_f16_e32 v0, v0, v2
	v_fma_f16 v2, v14, s6, v11
	v_add_f16_e32 v5, v6, v5
	v_fma_f16 v6, v1, s5, v17
	v_add_f16_e32 v16, v19, v20
	v_add_f16_e32 v18, v24, v25
	v_fma_f16 v11, v14, s5, v11
	v_fma_f16 v19, v15, s5, v3
	;; [unrolled: 1-line block ×6, first 2 shown]
	v_add_f16_e32 v0, v0, v7
	v_fma_f16 v2, v15, s3, v2
	v_add_f16_e32 v5, v5, v10
	v_fma_f16 v6, v23, s4, v6
	;; [unrolled: 2-line block ×3, first 2 shown]
	v_fma_f16 v11, v14, s3, v19
	v_fma_f16 v3, v14, s4, v3
	v_fma_f16 v10, v23, s3, v17
	v_fma_f16 v14, v1, s4, v20
	v_fma_f16 v1, v1, s3, v13
	v_fma_f16 v2, v12, s2, v2
	v_fma_f16 v6, v18, s2, v6
	v_pack_b32_f16 v0, v0, v5
	v_fma_f16 v7, v12, s2, v7
	v_fma_f16 v11, v16, s2, v11
	;; [unrolled: 1-line block ×6, first 2 shown]
	global_store_dword v[8:9], v0, off offset:680
	v_pack_b32_f16 v0, v2, v6
	v_pack_b32_f16 v2, v11, v12
	;; [unrolled: 1-line block ×3, first 2 shown]
	global_store_dword v[8:9], v0, off offset:1428
	global_store_dword v[8:9], v2, off offset:2176
	global_store_dword v[8:9], v1, off offset:2924
	v_pack_b32_f16 v0, v7, v10
	global_store_dword v[8:9], v0, off offset:3672
.LBB0_21:
	s_endpgm
	.section	.rodata,"a",@progbits
	.p2align	6, 0x0
	.amdhsa_kernel fft_rtc_back_len935_factors_17_11_5_wgs_255_tpt_85_halfLds_half_ip_CI_unitstride_sbrr_dirReg
		.amdhsa_group_segment_fixed_size 0
		.amdhsa_private_segment_fixed_size 0
		.amdhsa_kernarg_size 88
		.amdhsa_user_sgpr_count 6
		.amdhsa_user_sgpr_private_segment_buffer 1
		.amdhsa_user_sgpr_dispatch_ptr 0
		.amdhsa_user_sgpr_queue_ptr 0
		.amdhsa_user_sgpr_kernarg_segment_ptr 1
		.amdhsa_user_sgpr_dispatch_id 0
		.amdhsa_user_sgpr_flat_scratch_init 0
		.amdhsa_user_sgpr_private_segment_size 0
		.amdhsa_uses_dynamic_stack 0
		.amdhsa_system_sgpr_private_segment_wavefront_offset 0
		.amdhsa_system_sgpr_workgroup_id_x 1
		.amdhsa_system_sgpr_workgroup_id_y 0
		.amdhsa_system_sgpr_workgroup_id_z 0
		.amdhsa_system_sgpr_workgroup_info 0
		.amdhsa_system_vgpr_workitem_id 0
		.amdhsa_next_free_vgpr 89
		.amdhsa_next_free_sgpr 51
		.amdhsa_reserve_vcc 1
		.amdhsa_reserve_flat_scratch 0
		.amdhsa_float_round_mode_32 0
		.amdhsa_float_round_mode_16_64 0
		.amdhsa_float_denorm_mode_32 3
		.amdhsa_float_denorm_mode_16_64 3
		.amdhsa_dx10_clamp 1
		.amdhsa_ieee_mode 1
		.amdhsa_fp16_overflow 0
		.amdhsa_exception_fp_ieee_invalid_op 0
		.amdhsa_exception_fp_denorm_src 0
		.amdhsa_exception_fp_ieee_div_zero 0
		.amdhsa_exception_fp_ieee_overflow 0
		.amdhsa_exception_fp_ieee_underflow 0
		.amdhsa_exception_fp_ieee_inexact 0
		.amdhsa_exception_int_div_zero 0
	.end_amdhsa_kernel
	.text
.Lfunc_end0:
	.size	fft_rtc_back_len935_factors_17_11_5_wgs_255_tpt_85_halfLds_half_ip_CI_unitstride_sbrr_dirReg, .Lfunc_end0-fft_rtc_back_len935_factors_17_11_5_wgs_255_tpt_85_halfLds_half_ip_CI_unitstride_sbrr_dirReg
                                        ; -- End function
	.section	.AMDGPU.csdata,"",@progbits
; Kernel info:
; codeLenInByte = 10696
; NumSgprs: 55
; NumVgprs: 89
; ScratchSize: 0
; MemoryBound: 0
; FloatMode: 240
; IeeeMode: 1
; LDSByteSize: 0 bytes/workgroup (compile time only)
; SGPRBlocks: 6
; VGPRBlocks: 22
; NumSGPRsForWavesPerEU: 55
; NumVGPRsForWavesPerEU: 89
; Occupancy: 2
; WaveLimiterHint : 1
; COMPUTE_PGM_RSRC2:SCRATCH_EN: 0
; COMPUTE_PGM_RSRC2:USER_SGPR: 6
; COMPUTE_PGM_RSRC2:TRAP_HANDLER: 0
; COMPUTE_PGM_RSRC2:TGID_X_EN: 1
; COMPUTE_PGM_RSRC2:TGID_Y_EN: 0
; COMPUTE_PGM_RSRC2:TGID_Z_EN: 0
; COMPUTE_PGM_RSRC2:TIDIG_COMP_CNT: 0
	.type	__hip_cuid_f8da2af92dd1cf91,@object ; @__hip_cuid_f8da2af92dd1cf91
	.section	.bss,"aw",@nobits
	.globl	__hip_cuid_f8da2af92dd1cf91
__hip_cuid_f8da2af92dd1cf91:
	.byte	0                               ; 0x0
	.size	__hip_cuid_f8da2af92dd1cf91, 1

	.ident	"AMD clang version 19.0.0git (https://github.com/RadeonOpenCompute/llvm-project roc-6.4.0 25133 c7fe45cf4b819c5991fe208aaa96edf142730f1d)"
	.section	".note.GNU-stack","",@progbits
	.addrsig
	.addrsig_sym __hip_cuid_f8da2af92dd1cf91
	.amdgpu_metadata
---
amdhsa.kernels:
  - .args:
      - .actual_access:  read_only
        .address_space:  global
        .offset:         0
        .size:           8
        .value_kind:     global_buffer
      - .offset:         8
        .size:           8
        .value_kind:     by_value
      - .actual_access:  read_only
        .address_space:  global
        .offset:         16
        .size:           8
        .value_kind:     global_buffer
      - .actual_access:  read_only
        .address_space:  global
        .offset:         24
        .size:           8
        .value_kind:     global_buffer
      - .offset:         32
        .size:           8
        .value_kind:     by_value
      - .actual_access:  read_only
        .address_space:  global
        .offset:         40
        .size:           8
        .value_kind:     global_buffer
      - .actual_access:  read_only
        .address_space:  global
        .offset:         48
        .size:           8
        .value_kind:     global_buffer
      - .offset:         56
        .size:           4
        .value_kind:     by_value
      - .actual_access:  read_only
        .address_space:  global
        .offset:         64
        .size:           8
        .value_kind:     global_buffer
      - .actual_access:  read_only
        .address_space:  global
        .offset:         72
        .size:           8
        .value_kind:     global_buffer
      - .address_space:  global
        .offset:         80
        .size:           8
        .value_kind:     global_buffer
    .group_segment_fixed_size: 0
    .kernarg_segment_align: 8
    .kernarg_segment_size: 88
    .language:       OpenCL C
    .language_version:
      - 2
      - 0
    .max_flat_workgroup_size: 255
    .name:           fft_rtc_back_len935_factors_17_11_5_wgs_255_tpt_85_halfLds_half_ip_CI_unitstride_sbrr_dirReg
    .private_segment_fixed_size: 0
    .sgpr_count:     55
    .sgpr_spill_count: 0
    .symbol:         fft_rtc_back_len935_factors_17_11_5_wgs_255_tpt_85_halfLds_half_ip_CI_unitstride_sbrr_dirReg.kd
    .uniform_work_group_size: 1
    .uses_dynamic_stack: false
    .vgpr_count:     89
    .vgpr_spill_count: 0
    .wavefront_size: 64
amdhsa.target:   amdgcn-amd-amdhsa--gfx906
amdhsa.version:
  - 1
  - 2
...

	.end_amdgpu_metadata
